;; amdgpu-corpus repo=ROCm/rocFFT kind=compiled arch=gfx906 opt=O3
	.text
	.amdgcn_target "amdgcn-amd-amdhsa--gfx906"
	.amdhsa_code_object_version 6
	.protected	fft_rtc_back_len17_factors_17_wgs_120_tpt_1_half_op_CI_CI_sbrr_dirReg ; -- Begin function fft_rtc_back_len17_factors_17_wgs_120_tpt_1_half_op_CI_CI_sbrr_dirReg
	.globl	fft_rtc_back_len17_factors_17_wgs_120_tpt_1_half_op_CI_CI_sbrr_dirReg
	.p2align	8
	.type	fft_rtc_back_len17_factors_17_wgs_120_tpt_1_half_op_CI_CI_sbrr_dirReg,@function
fft_rtc_back_len17_factors_17_wgs_120_tpt_1_half_op_CI_CI_sbrr_dirReg: ; @fft_rtc_back_len17_factors_17_wgs_120_tpt_1_half_op_CI_CI_sbrr_dirReg
; %bb.0:
	s_load_dwordx4 s[12:15], s[4:5], 0x18
	s_load_dwordx2 s[18:19], s[4:5], 0x8
	s_load_dwordx4 s[8:11], s[4:5], 0x58
	s_mulk_i32 s6, 0x78
	v_mov_b32_e32 v6, 0
	s_waitcnt lgkmcnt(0)
	s_load_dwordx2 s[16:17], s[12:13], 0x0
	s_load_dwordx2 s[2:3], s[14:15], 0x0
	v_cmp_lt_u64_e64 s[0:1], s[18:19], 2
	v_mov_b32_e32 v4, 0
	v_add_u32_e32 v8, s6, v0
	v_mov_b32_e32 v9, v6
	s_and_b64 vcc, exec, s[0:1]
	v_mov_b32_e32 v5, 0
	s_cbranch_vccnz .LBB0_8
; %bb.1:
	s_load_dwordx2 s[0:1], s[4:5], 0x10
	s_add_u32 s6, s14, 8
	s_addc_u32 s7, s15, 0
	s_add_u32 s20, s12, 8
	s_addc_u32 s21, s13, 0
	v_mov_b32_e32 v4, 0
	s_waitcnt lgkmcnt(0)
	s_add_u32 s22, s0, 8
	v_mov_b32_e32 v5, 0
	v_mov_b32_e32 v0, v4
	s_addc_u32 s23, s1, 0
	s_mov_b64 s[24:25], 1
	v_mov_b32_e32 v1, v5
.LBB0_2:                                ; =>This Inner Loop Header: Depth=1
	s_load_dwordx2 s[26:27], s[22:23], 0x0
                                        ; implicit-def: $vgpr2_vgpr3
	s_waitcnt lgkmcnt(0)
	v_or_b32_e32 v7, s27, v9
	v_cmp_ne_u64_e32 vcc, 0, v[6:7]
	s_and_saveexec_b64 s[0:1], vcc
	s_xor_b64 s[28:29], exec, s[0:1]
	s_cbranch_execz .LBB0_4
; %bb.3:                                ;   in Loop: Header=BB0_2 Depth=1
	v_cvt_f32_u32_e32 v2, s26
	v_cvt_f32_u32_e32 v3, s27
	s_sub_u32 s0, 0, s26
	s_subb_u32 s1, 0, s27
	v_mac_f32_e32 v2, 0x4f800000, v3
	v_rcp_f32_e32 v2, v2
	v_mul_f32_e32 v2, 0x5f7ffffc, v2
	v_mul_f32_e32 v3, 0x2f800000, v2
	v_trunc_f32_e32 v3, v3
	v_mac_f32_e32 v2, 0xcf800000, v3
	v_cvt_u32_f32_e32 v3, v3
	v_cvt_u32_f32_e32 v2, v2
	v_mul_lo_u32 v7, s0, v3
	v_mul_hi_u32 v10, s0, v2
	v_mul_lo_u32 v12, s1, v2
	v_mul_lo_u32 v11, s0, v2
	v_add_u32_e32 v7, v10, v7
	v_add_u32_e32 v7, v7, v12
	v_mul_hi_u32 v10, v2, v11
	v_mul_lo_u32 v12, v2, v7
	v_mul_hi_u32 v14, v2, v7
	v_mul_hi_u32 v13, v3, v11
	v_mul_lo_u32 v11, v3, v11
	v_mul_hi_u32 v15, v3, v7
	v_add_co_u32_e32 v10, vcc, v10, v12
	v_addc_co_u32_e32 v12, vcc, 0, v14, vcc
	v_mul_lo_u32 v7, v3, v7
	v_add_co_u32_e32 v10, vcc, v10, v11
	v_addc_co_u32_e32 v10, vcc, v12, v13, vcc
	v_addc_co_u32_e32 v11, vcc, 0, v15, vcc
	v_add_co_u32_e32 v7, vcc, v10, v7
	v_addc_co_u32_e32 v10, vcc, 0, v11, vcc
	v_add_co_u32_e32 v2, vcc, v2, v7
	v_addc_co_u32_e32 v3, vcc, v3, v10, vcc
	v_mul_lo_u32 v7, s0, v3
	v_mul_hi_u32 v10, s0, v2
	v_mul_lo_u32 v11, s1, v2
	v_mul_lo_u32 v12, s0, v2
	v_add_u32_e32 v7, v10, v7
	v_add_u32_e32 v7, v7, v11
	v_mul_lo_u32 v13, v2, v7
	v_mul_hi_u32 v14, v2, v12
	v_mul_hi_u32 v15, v2, v7
	;; [unrolled: 1-line block ×3, first 2 shown]
	v_mul_lo_u32 v12, v3, v12
	v_mul_hi_u32 v10, v3, v7
	v_add_co_u32_e32 v13, vcc, v14, v13
	v_addc_co_u32_e32 v14, vcc, 0, v15, vcc
	v_mul_lo_u32 v7, v3, v7
	v_add_co_u32_e32 v12, vcc, v13, v12
	v_addc_co_u32_e32 v11, vcc, v14, v11, vcc
	v_addc_co_u32_e32 v10, vcc, 0, v10, vcc
	v_add_co_u32_e32 v7, vcc, v11, v7
	v_addc_co_u32_e32 v10, vcc, 0, v10, vcc
	v_add_co_u32_e32 v7, vcc, v2, v7
	v_addc_co_u32_e32 v10, vcc, v3, v10, vcc
	v_mad_u64_u32 v[2:3], s[0:1], v8, v10, 0
	v_mul_hi_u32 v11, v8, v7
	v_add_co_u32_e32 v12, vcc, v11, v2
	v_addc_co_u32_e32 v13, vcc, 0, v3, vcc
	v_mad_u64_u32 v[2:3], s[0:1], v9, v7, 0
	v_mad_u64_u32 v[10:11], s[0:1], v9, v10, 0
	v_add_co_u32_e32 v2, vcc, v12, v2
	v_addc_co_u32_e32 v2, vcc, v13, v3, vcc
	v_addc_co_u32_e32 v3, vcc, 0, v11, vcc
	v_add_co_u32_e32 v7, vcc, v2, v10
	v_addc_co_u32_e32 v10, vcc, 0, v3, vcc
	v_mul_lo_u32 v11, s27, v7
	v_mul_lo_u32 v12, s26, v10
	v_mad_u64_u32 v[2:3], s[0:1], s26, v7, 0
	v_add3_u32 v3, v3, v12, v11
	v_sub_u32_e32 v11, v9, v3
	v_mov_b32_e32 v12, s27
	v_sub_co_u32_e32 v2, vcc, v8, v2
	v_subb_co_u32_e64 v11, s[0:1], v11, v12, vcc
	v_subrev_co_u32_e64 v12, s[0:1], s26, v2
	v_subbrev_co_u32_e64 v11, s[0:1], 0, v11, s[0:1]
	v_cmp_le_u32_e64 s[0:1], s27, v11
	v_cndmask_b32_e64 v13, 0, -1, s[0:1]
	v_cmp_le_u32_e64 s[0:1], s26, v12
	v_cndmask_b32_e64 v12, 0, -1, s[0:1]
	v_cmp_eq_u32_e64 s[0:1], s27, v11
	v_cndmask_b32_e64 v11, v13, v12, s[0:1]
	v_add_co_u32_e64 v12, s[0:1], 2, v7
	v_addc_co_u32_e64 v13, s[0:1], 0, v10, s[0:1]
	v_add_co_u32_e64 v14, s[0:1], 1, v7
	v_addc_co_u32_e64 v15, s[0:1], 0, v10, s[0:1]
	v_subb_co_u32_e32 v3, vcc, v9, v3, vcc
	v_cmp_ne_u32_e64 s[0:1], 0, v11
	v_cmp_le_u32_e32 vcc, s27, v3
	v_cndmask_b32_e64 v11, v15, v13, s[0:1]
	v_cndmask_b32_e64 v13, 0, -1, vcc
	v_cmp_le_u32_e32 vcc, s26, v2
	v_cndmask_b32_e64 v2, 0, -1, vcc
	v_cmp_eq_u32_e32 vcc, s27, v3
	v_cndmask_b32_e32 v2, v13, v2, vcc
	v_cmp_ne_u32_e32 vcc, 0, v2
	v_cndmask_b32_e64 v2, v14, v12, s[0:1]
	v_cndmask_b32_e32 v3, v10, v11, vcc
	v_cndmask_b32_e32 v2, v7, v2, vcc
.LBB0_4:                                ;   in Loop: Header=BB0_2 Depth=1
	s_andn2_saveexec_b64 s[0:1], s[28:29]
	s_cbranch_execz .LBB0_6
; %bb.5:                                ;   in Loop: Header=BB0_2 Depth=1
	v_cvt_f32_u32_e32 v2, s26
	s_sub_i32 s28, 0, s26
	v_rcp_iflag_f32_e32 v2, v2
	v_mul_f32_e32 v2, 0x4f7ffffe, v2
	v_cvt_u32_f32_e32 v2, v2
	v_mul_lo_u32 v3, s28, v2
	v_mul_hi_u32 v3, v2, v3
	v_add_u32_e32 v2, v2, v3
	v_mul_hi_u32 v2, v8, v2
	v_mul_lo_u32 v3, v2, s26
	v_add_u32_e32 v7, 1, v2
	v_sub_u32_e32 v3, v8, v3
	v_subrev_u32_e32 v10, s26, v3
	v_cmp_le_u32_e32 vcc, s26, v3
	v_cndmask_b32_e32 v3, v3, v10, vcc
	v_cndmask_b32_e32 v2, v2, v7, vcc
	v_add_u32_e32 v7, 1, v2
	v_cmp_le_u32_e32 vcc, s26, v3
	v_cndmask_b32_e32 v2, v2, v7, vcc
	v_mov_b32_e32 v3, v6
.LBB0_6:                                ;   in Loop: Header=BB0_2 Depth=1
	s_or_b64 exec, exec, s[0:1]
	v_mul_lo_u32 v7, v3, s26
	v_mul_lo_u32 v12, v2, s27
	v_mad_u64_u32 v[10:11], s[0:1], v2, s26, 0
	s_load_dwordx2 s[0:1], s[20:21], 0x0
	s_load_dwordx2 s[26:27], s[6:7], 0x0
	v_add3_u32 v7, v11, v12, v7
	v_sub_co_u32_e32 v8, vcc, v8, v10
	v_subb_co_u32_e32 v7, vcc, v9, v7, vcc
	s_waitcnt lgkmcnt(0)
	v_mul_lo_u32 v9, s0, v7
	v_mul_lo_u32 v10, s1, v8
	v_mad_u64_u32 v[4:5], s[0:1], s0, v8, v[4:5]
	v_mul_lo_u32 v7, s26, v7
	v_mul_lo_u32 v11, s27, v8
	v_mad_u64_u32 v[0:1], s[0:1], s26, v8, v[0:1]
	s_add_u32 s24, s24, 1
	s_addc_u32 s25, s25, 0
	s_add_u32 s6, s6, 8
	v_add3_u32 v1, v11, v1, v7
	s_addc_u32 s7, s7, 0
	v_mov_b32_e32 v7, s18
	s_add_u32 s20, s20, 8
	v_mov_b32_e32 v8, s19
	s_addc_u32 s21, s21, 0
	v_cmp_ge_u64_e32 vcc, s[24:25], v[7:8]
	s_add_u32 s22, s22, 8
	v_add3_u32 v5, v10, v5, v9
	s_addc_u32 s23, s23, 0
	s_cbranch_vccnz .LBB0_9
; %bb.7:                                ;   in Loop: Header=BB0_2 Depth=1
	v_mov_b32_e32 v9, v3
	v_mov_b32_e32 v8, v2
	s_branch .LBB0_2
.LBB0_8:
	v_mov_b32_e32 v0, v4
	v_mov_b32_e32 v2, v8
	;; [unrolled: 1-line block ×4, first 2 shown]
.LBB0_9:
	s_load_dwordx2 s[6:7], s[4:5], 0x28
	s_lshl_b64 s[0:1], s[18:19], 3
	s_add_u32 s4, s14, s0
	s_addc_u32 s5, s15, s1
                                        ; implicit-def: $vgpr23
                                        ; implicit-def: $vgpr8
                                        ; implicit-def: $vgpr24
                                        ; implicit-def: $vgpr9
                                        ; implicit-def: $vgpr25
                                        ; implicit-def: $vgpr7
                                        ; implicit-def: $vgpr26
                                        ; implicit-def: $vgpr10
                                        ; implicit-def: $vgpr27
                                        ; implicit-def: $vgpr12
                                        ; implicit-def: $vgpr28
                                        ; implicit-def: $vgpr13
                                        ; implicit-def: $vgpr29
                                        ; implicit-def: $vgpr14
                                        ; implicit-def: $vgpr30
                                        ; implicit-def: $vgpr11
                                        ; implicit-def: $vgpr31
                                        ; implicit-def: $vgpr20
                                        ; implicit-def: $vgpr32
                                        ; implicit-def: $vgpr21
                                        ; implicit-def: $vgpr33
                                        ; implicit-def: $vgpr22
                                        ; implicit-def: $vgpr34
                                        ; implicit-def: $vgpr15
                                        ; implicit-def: $vgpr35
                                        ; implicit-def: $vgpr16
                                        ; implicit-def: $vgpr36
                                        ; implicit-def: $vgpr17
                                        ; implicit-def: $vgpr37
                                        ; implicit-def: $vgpr18
                                        ; implicit-def: $vgpr38
                                        ; implicit-def: $vgpr19
                                        ; implicit-def: $vgpr6
	s_waitcnt lgkmcnt(0)
	v_cmp_gt_u64_e32 vcc, s[6:7], v[2:3]
	s_and_saveexec_b64 s[6:7], vcc
	s_cbranch_execnz .LBB0_12
; %bb.10:
	s_or_b64 exec, exec, s[6:7]
	s_and_saveexec_b64 s[0:1], vcc
	s_cbranch_execnz .LBB0_13
.LBB0_11:
	s_endpgm
.LBB0_12:
	s_add_u32 s0, s12, s0
	s_addc_u32 s1, s13, s1
	s_load_dwordx2 s[0:1], s[0:1], 0x0
	v_mov_b32_e32 v10, s9
	v_lshlrev_b64 v[4:5], 2, v[4:5]
	s_waitcnt lgkmcnt(0)
	v_mul_lo_u32 v8, s1, v2
	v_mul_lo_u32 v9, s0, v3
	v_mad_u64_u32 v[6:7], s[0:1], s0, v2, 0
	v_add3_u32 v7, v7, v9, v8
	v_lshlrev_b64 v[6:7], 2, v[6:7]
	v_add_co_u32_e64 v6, s[0:1], s8, v6
	v_addc_co_u32_e64 v7, s[0:1], v10, v7, s[0:1]
	v_add_co_u32_e64 v4, s[0:1], v6, v4
	v_addc_co_u32_e64 v5, s[0:1], v7, v5, s[0:1]
	v_mad_u64_u32 v[6:7], s[8:9], s16, 12, v[4:5]
	s_lshl_b64 s[0:1], s[16:17], 2
	v_mov_b32_e32 v8, s1
	v_add_co_u32_e64 v12, s[0:1], s0, v4
	v_addc_co_u32_e64 v13, s[0:1], v5, v8, s[0:1]
	v_mad_u64_u32 v[7:8], s[8:9], s17, 12, v[7:8]
	s_lshl_b64 s[0:1], s[16:17], 3
	v_mov_b32_e32 v9, s1
	global_load_dword v7, v[6:7], off
	v_add_co_u32_e64 v14, s[0:1], s0, v4
	v_addc_co_u32_e64 v15, s[0:1], v5, v9, s[0:1]
	v_mad_u64_u32 v[20:21], s[0:1], s16, 20, v[4:5]
	v_mad_u64_u32 v[22:23], s[8:9], s16, 24, v[4:5]
	;; [unrolled: 1-line block ×3, first 2 shown]
	s_lshl_b64 s[0:1], s[16:17], 4
	v_mov_b32_e32 v17, s1
	v_mov_b32_e32 v6, v21
	v_add_co_u32_e64 v16, s[0:1], s0, v4
	v_mad_u64_u32 v[26:27], s[8:9], s16, 36, v[4:5]
	v_addc_co_u32_e64 v17, s[0:1], v5, v17, s[0:1]
	s_lshl_b64 s[0:1], s[16:17], 5
	s_waitcnt vmcnt(0)
	v_mad_u64_u32 v[8:9], s[8:9], s17, 20, v[6:7]
	v_mov_b32_e32 v6, v23
	v_mad_u64_u32 v[9:10], s[8:9], s17, 24, v[6:7]
	v_mov_b32_e32 v6, v25
	;; [unrolled: 2-line block ×3, first 2 shown]
	v_add_co_u32_e64 v18, s[0:1], s0, v4
	v_addc_co_u32_e64 v19, s[0:1], v5, v6, s[0:1]
	v_mov_b32_e32 v6, v27
	v_mad_u64_u32 v[27:28], s[0:1], s17, 36, v[6:7]
	v_mad_u64_u32 v[28:29], s[0:1], s16, 40, v[4:5]
	;; [unrolled: 1-line block ×3, first 2 shown]
	v_mov_b32_e32 v6, v29
	v_mov_b32_e32 v21, v8
	;; [unrolled: 1-line block ×4, first 2 shown]
	global_load_dword v8, v[12:13], off
	global_load_dword v9, v[14:15], off
	;; [unrolled: 1-line block ×4, first 2 shown]
	v_mad_u64_u32 v[12:13], s[0:1], s17, 40, v[6:7]
	v_mov_b32_e32 v6, v31
	v_mad_u64_u32 v[32:33], s[0:1], s16, 48, v[4:5]
	v_mad_u64_u32 v[13:14], s[0:1], s17, 44, v[6:7]
	v_mad_u64_u32 v[34:35], s[0:1], s16, 52, v[4:5]
	v_mad_u64_u32 v[36:37], s[0:1], s16, 56, v[4:5]
	v_mad_u64_u32 v[38:39], s[0:1], s16, 60, v[4:5]
	v_mov_b32_e32 v6, v33
	v_mov_b32_e32 v29, v12
	;; [unrolled: 1-line block ×3, first 2 shown]
	v_mad_u64_u32 v[12:13], s[0:1], s17, 48, v[6:7]
	v_mov_b32_e32 v6, v35
	v_mad_u64_u32 v[13:14], s[0:1], s17, 52, v[6:7]
	v_mov_b32_e32 v6, v37
	;; [unrolled: 2-line block ×3, first 2 shown]
	v_mad_u64_u32 v[41:42], s[0:1], s17, 60, v[6:7]
	s_lshl_b64 s[0:1], s[16:17], 6
	v_mov_b32_e32 v33, v12
	v_mov_b32_e32 v35, v13
	global_load_dword v12, v[20:21], off
	global_load_dword v13, v[22:23], off
	;; [unrolled: 1-line block ×8, first 2 shown]
	v_mov_b32_e32 v37, v40
	v_mov_b32_e32 v6, s1
	v_add_co_u32_e64 v23, s[0:1], s0, v4
	v_mov_b32_e32 v39, v41
	v_addc_co_u32_e64 v24, s[0:1], v5, v6, s[0:1]
	global_load_dword v22, v[36:37], off
	global_load_dword v21, v[38:39], off
	;; [unrolled: 1-line block ×4, first 2 shown]
	v_lshrrev_b32_e32 v25, 16, v7
	s_waitcnt vmcnt(15)
	v_lshrrev_b32_e32 v23, 16, v8
	s_waitcnt vmcnt(14)
	;; [unrolled: 2-line block ×15, first 2 shown]
	v_lshrrev_b32_e32 v31, 16, v20
	s_or_b64 exec, exec, s[6:7]
	s_and_saveexec_b64 s[0:1], vcc
	s_cbranch_execz .LBB0_11
.LBB0_13:
	s_load_dwordx2 s[0:1], s[4:5], 0x0
	v_mov_b32_e32 v39, s11
	v_lshlrev_b64 v[0:1], 2, v[0:1]
	v_sub_f16_e32 v67, v8, v20
	v_sub_f16_e32 v68, v9, v21
	s_waitcnt lgkmcnt(0)
	v_mul_lo_u32 v4, s1, v2
	v_mul_lo_u32 v5, s0, v3
	v_mad_u64_u32 v[2:3], s[0:1], s0, v2, 0
	s_movk_i32 s1, 0x3b76
	s_movk_i32 s0, 0x39e9
	v_add3_u32 v3, v3, v5, v4
	v_lshlrev_b64 v[2:3], 2, v[2:3]
	v_mul_f16_e32 v5, 0xb964, v68
	v_add_co_u32_e32 v2, vcc, s10, v2
	v_addc_co_u32_e32 v3, vcc, v39, v3, vcc
	v_add_co_u32_e32 v0, vcc, v2, v0
	v_addc_co_u32_e32 v1, vcc, v3, v1, vcc
	v_add_f16_e32 v2, v23, v31
	v_mul_f16_e32 v3, 0xb5c8, v67
	v_fma_f16 v4, v2, s1, -v3
	s_waitcnt vmcnt(0)
	v_add_f16_sdwa v39, v4, v6 dst_sel:DWORD dst_unused:UNUSED_PAD src0_sel:DWORD src1_sel:WORD_1
	v_add_f16_e32 v4, v24, v32
	v_fma_f16 v40, v4, s0, -v5
	v_sub_f16_e32 v69, v7, v22
	v_add_f16_e32 v41, v40, v39
	s_movk_i32 s4, 0x3722
	v_add_f16_e32 v39, v25, v33
	v_mul_f16_e32 v40, 0xbb29, v69
	v_fma_f16 v42, v39, s4, -v40
	v_sub_f16_e32 v70, v10, v15
	v_add_f16_e32 v43, v42, v41
	s_movk_i32 s5, 0x2de8
	v_add_f16_e32 v41, v26, v34
	v_mul_f16_e32 v42, 0xbbf7, v70
	v_fma_f16 v44, v41, s5, -v42
	v_sub_f16_e32 v71, v12, v16
	v_add_f16_e32 v45, v44, v43
	s_mov_b32 s6, 0xb461
	v_add_f16_e32 v43, v27, v35
	v_mul_f16_e32 v44, 0xbbb2, v71
	v_fma_f16 v46, v43, s6, -v44
	v_sub_f16_e32 v72, v13, v17
	v_add_f16_e32 v47, v46, v45
	s_mov_b32 s7, 0xb8d2
	;; [unrolled: 6-line block ×4, first 2 shown]
	v_add_f16_e32 v49, v30, v38
	v_mul_f16_e32 v50, 0xb1e1, v74
	v_fma_f16 v52, v49, s9, -v50
	v_sub_f16_e32 v76, v23, v31
	v_add_f16_e32 v75, v52, v51
	v_add_f16_e32 v51, v8, v20
	v_mul_f16_e32 v52, 0xb5c8, v76
	v_fma_f16 v53, v51, s1, v52
	v_sub_f16_e32 v77, v24, v32
	v_add_f16_e32 v55, v53, v6
	v_add_f16_e32 v53, v9, v21
	v_mul_f16_e32 v54, 0xb964, v77
	v_add_f16_sdwa v23, v23, v6 dst_sel:DWORD dst_unused:UNUSED_PAD src0_sel:DWORD src1_sel:WORD_1
	v_add_f16_e32 v8, v8, v6
	v_fma_f16 v56, v53, s0, v54
	v_add_f16_e32 v23, v24, v23
	v_add_f16_e32 v8, v9, v8
	;; [unrolled: 1-line block ×8, first 2 shown]
	v_sub_f16_e32 v78, v25, v33
	v_add_f16_e32 v23, v27, v23
	v_add_f16_e32 v7, v12, v7
	v_mul_f16_e32 v56, 0xbb29, v78
	v_add_f16_e32 v23, v28, v23
	v_add_f16_e32 v7, v13, v7
	v_fma_f16 v58, v55, s4, v56
	v_sub_f16_e32 v79, v26, v34
	v_add_f16_e32 v23, v29, v23
	v_add_f16_e32 v7, v14, v7
	v_add_f16_e32 v59, v58, v57
	v_add_f16_e32 v57, v10, v15
	v_mul_f16_e32 v58, 0xbbf7, v79
	v_add_f16_e32 v23, v30, v23
	v_add_f16_e32 v7, v11, v7
	v_fma_f16 v60, v57, s5, v58
	v_sub_f16_e32 v80, v27, v35
	v_add_f16_e32 v23, v38, v23
	v_add_f16_e32 v7, v19, v7
	;; [unrolled: 9-line block ×5, first 2 shown]
	v_add_f16_e32 v83, v66, v64
	v_add_f16_e32 v64, v11, v19
	v_mul_f16_e32 v66, 0xb1e1, v84
	v_add_f16_sdwa v23, v31, v23 dst_sel:WORD_1 dst_unused:UNUSED_PAD src0_sel:DWORD src1_sel:DWORD
	v_add_f16_e32 v7, v20, v7
	v_fma_f16 v85, v64, s9, v66
	v_or_b32_e32 v7, v23, v7
	s_lshl_b64 s[10:11], s[2:3], 2
	v_add_f16_e32 v83, v85, v83
	global_store_dword v[0:1], v7, off
	v_mov_b32_e32 v8, s11
	v_add_co_u32_e32 v7, vcc, s10, v0
	v_addc_co_u32_e32 v8, vcc, v1, v8, vcc
	v_pack_b32_f16 v9, v83, v75
	global_store_dword v[7:8], v9, off
	v_mul_f16_e32 v9, 0xb964, v67
	v_fma_f16 v7, v2, s0, -v9
	v_mul_f16_e32 v10, 0xbbf7, v68
	v_add_f16_sdwa v7, v7, v6 dst_sel:DWORD dst_unused:UNUSED_PAD src0_sel:DWORD src1_sel:WORD_1
	v_fma_f16 v8, v4, s5, -v10
	v_mul_f16_e32 v11, 0xba62, v69
	v_add_f16_e32 v7, v8, v7
	v_fma_f16 v8, v39, s7, -v11
	v_mul_f16_e32 v12, 0xb1e1, v70
	v_add_f16_e32 v7, v8, v7
	;; [unrolled: 3-line block ×7, first 2 shown]
	v_fma_f16 v7, v51, s0, v17
	v_mul_f16_e32 v18, 0xbbf7, v77
	v_add_f16_e32 v7, v7, v6
	v_fma_f16 v8, v53, s5, v18
	v_mul_f16_e32 v19, 0xba62, v78
	v_add_f16_e32 v7, v8, v7
	;; [unrolled: 3-line block ×7, first 2 shown]
	v_fma_f16 v8, v64, s1, v25
	s_lshl_b64 s[10:11], s[2:3], 3
	v_add_f16_e32 v26, v8, v7
	v_mov_b32_e32 v8, s11
	v_add_co_u32_e32 v7, vcc, s10, v0
	v_addc_co_u32_e32 v8, vcc, v1, v8, vcc
	v_pack_b32_f16 v23, v26, v23
	v_mul_f16_e32 v26, 0xb1e1, v67
	global_store_dword v[7:8], v23, off
	v_fma_f16 v7, v2, s9, -v26
	v_mul_f16_e32 v27, 0x35c8, v68
	v_add_f16_sdwa v7, v7, v6 dst_sel:DWORD dst_unused:UNUSED_PAD src0_sel:DWORD src1_sel:WORD_1
	v_fma_f16 v8, v4, s1, -v27
	v_mul_f16_e32 v28, 0xb836, v69
	v_add_f16_e32 v7, v8, v7
	v_fma_f16 v8, v39, s8, -v28
	v_mul_f16_e32 v29, 0x3964, v70
	v_add_f16_e32 v7, v8, v7
	;; [unrolled: 3-line block ×7, first 2 shown]
	v_fma_f16 v8, v51, s9, v34
	v_mul_f16_e32 v35, 0x35c8, v77
	v_add_f16_e32 v8, v8, v6
	v_fma_f16 v23, v53, s1, v35
	v_mul_f16_e32 v36, 0xb836, v78
	v_add_f16_e32 v8, v23, v8
	;; [unrolled: 3-line block ×8, first 2 shown]
	v_fma_f16 v23, v2, s8, -v86
	v_mul_f16_e32 v87, 0x3b29, v68
	v_add_f16_sdwa v23, v23, v6 dst_sel:DWORD dst_unused:UNUSED_PAD src0_sel:DWORD src1_sel:WORD_1
	v_fma_f16 v88, v4, s4, -v87
	v_add_f16_e32 v23, v88, v23
	v_mul_f16_e32 v88, 0xbbf7, v69
	v_fma_f16 v89, v39, s5, -v88
	v_add_f16_e32 v23, v89, v23
	v_mul_f16_e32 v89, 0x3a62, v70
	v_fma_f16 v90, v41, s7, -v89
	v_add_f16_e32 v23, v90, v23
	v_mul_f16_e32 v90, 0xb5c8, v71
	v_fma_f16 v91, v43, s1, -v90
	v_add_f16_e32 v23, v91, v23
	v_mul_f16_e32 v91, 0xb1e1, v72
	v_fma_f16 v92, v45, s9, -v91
	v_add_f16_e32 v23, v92, v23
	v_mul_f16_e32 v92, 0x3964, v73
	v_fma_f16 v93, v47, s0, -v92
	v_add_f16_e32 v23, v93, v23
	v_mul_f16_e32 v93, 0xbbb2, v74
	v_fma_f16 v94, v49, s6, -v93
	v_add_f16_e32 v23, v94, v23
	v_mul_f16_e32 v94, 0xb836, v76
	v_fma_f16 v95, v51, s8, v94
	v_mul_f16_e32 v96, 0x3b29, v77
	v_add_f16_e32 v95, v95, v6
	v_fma_f16 v97, v53, s4, v96
	v_add_f16_e32 v95, v97, v95
	v_mul_f16_e32 v97, 0xbbf7, v78
	v_fma_f16 v98, v55, s5, v97
	v_add_f16_e32 v95, v98, v95
	v_mul_f16_e32 v98, 0x3a62, v79
	;; [unrolled: 3-line block ×7, first 2 shown]
	v_fma_f16 v104, v2, s7, -v103
	v_mul_f16_e32 v105, 0x3bb2, v68
	v_add_f16_sdwa v104, v104, v6 dst_sel:DWORD dst_unused:UNUSED_PAD src0_sel:DWORD src1_sel:WORD_1
	v_fma_f16 v106, v4, s6, -v105
	v_add_f16_e32 v104, v106, v104
	v_mul_f16_e32 v106, 0xb5c8, v69
	v_fma_f16 v107, v39, s1, -v106
	v_add_f16_e32 v104, v107, v104
	v_mul_f16_e32 v107, 0xb836, v70
	;; [unrolled: 3-line block ×4, first 2 shown]
	v_fma_f16 v110, v45, s0, -v109
	v_fma_f16 v26, v2, s9, v26
	v_add_f16_e32 v104, v110, v104
	v_mul_f16_e32 v110, 0xb1e1, v73
	v_add_f16_sdwa v26, v26, v6 dst_sel:DWORD dst_unused:UNUSED_PAD src0_sel:DWORD src1_sel:WORD_1
	v_fma_f16 v27, v4, s1, v27
	v_fma_f16 v111, v47, s9, -v110
	v_add_f16_e32 v26, v27, v26
	v_fma_f16 v27, v39, s8, v28
	v_add_f16_e32 v104, v111, v104
	v_mul_f16_e32 v111, 0x3b29, v74
	v_add_f16_e32 v26, v27, v26
	v_fma_f16 v27, v41, s0, v29
	v_fma_f16 v112, v49, s4, -v111
	v_add_f16_e32 v26, v27, v26
	v_fma_f16 v27, v43, s7, v30
	v_add_f16_e32 v104, v112, v104
	v_mul_f16_e32 v112, 0xba62, v76
	v_add_f16_e32 v26, v27, v26
	v_fma_f16 v27, v45, s4, v31
	v_fma_f16 v113, v51, s7, v112
	v_mul_f16_e32 v114, 0x3bb2, v77
	v_add_f16_e32 v26, v27, v26
	v_fma_f16 v27, v47, s6, v32
	v_add_f16_e32 v113, v113, v6
	v_fma_f16 v115, v53, s6, v114
	;; [unrolled: 2-line block ×3, first 2 shown]
	v_add_f16_e32 v113, v115, v113
	v_mul_f16_e32 v115, 0xb5c8, v78
	v_add_f16_e32 v26, v27, v26
	v_fma_f16 v27, v51, s9, -v34
	v_fma_f16 v116, v55, s1, v115
	v_add_f16_e32 v27, v27, v6
	v_fma_f16 v28, v53, s1, -v35
	v_add_f16_e32 v113, v116, v113
	v_mul_f16_e32 v116, 0xb836, v79
	v_add_f16_e32 v27, v28, v27
	v_fma_f16 v28, v55, s8, -v36
	v_fma_f16 v117, v57, s8, v116
	v_add_f16_e32 v27, v28, v27
	v_fma_f16 v28, v57, s0, -v37
	;; [unrolled: 7-line block ×4, first 2 shown]
	v_add_f16_e32 v113, v119, v113
	v_mul_f16_e32 v119, 0xb1e1, v82
	v_add_f16_e32 v27, v28, v27
	v_fma_f16 v28, v2, s8, v86
	v_fma_f16 v120, v63, s9, v119
	v_add_f16_sdwa v28, v28, v6 dst_sel:DWORD dst_unused:UNUSED_PAD src0_sel:DWORD src1_sel:WORD_1
	v_fma_f16 v29, v4, s4, v87
	v_add_f16_e32 v113, v120, v113
	v_mul_f16_e32 v120, 0x3b29, v84
	v_add_f16_e32 v28, v29, v28
	v_fma_f16 v29, v39, s5, v88
	v_fma_f16 v121, v64, s4, v120
	v_add_f16_e32 v28, v29, v28
	v_fma_f16 v29, v41, s7, v89
	v_add_f16_e32 v113, v121, v113
	v_mul_f16_e32 v121, 0xbbb2, v67
	v_add_f16_e32 v28, v29, v28
	v_fma_f16 v29, v43, s1, v90
	v_fma_f16 v122, v2, s6, -v121
	v_mul_f16_e32 v123, 0x3836, v68
	v_add_f16_e32 v28, v29, v28
	v_fma_f16 v29, v45, s9, v91
	v_add_f16_sdwa v122, v122, v6 dst_sel:DWORD dst_unused:UNUSED_PAD src0_sel:DWORD src1_sel:WORD_1
	v_fma_f16 v124, v4, s8, -v123
	v_add_f16_e32 v28, v29, v28
	v_fma_f16 v29, v47, s0, v92
	v_add_f16_e32 v122, v124, v122
	v_mul_f16_e32 v124, 0x3964, v69
	v_add_f16_e32 v28, v29, v28
	v_fma_f16 v29, v49, s6, v93
	v_fma_f16 v125, v39, s0, -v124
	v_add_f16_e32 v28, v29, v28
	v_fma_f16 v29, v51, s8, -v94
	v_add_f16_e32 v122, v125, v122
	v_mul_f16_e32 v125, 0xbb29, v70
	v_add_f16_e32 v29, v29, v6
	v_fma_f16 v30, v53, s4, -v96
	v_fma_f16 v126, v41, s4, -v125
	v_add_f16_e32 v29, v30, v29
	v_fma_f16 v30, v55, s5, -v97
	v_add_f16_e32 v122, v126, v122
	v_mul_f16_e32 v126, 0xb1e1, v71
	v_add_f16_e32 v29, v30, v29
	v_fma_f16 v30, v57, s7, -v98
	;; [unrolled: 7-line block ×4, first 2 shown]
	v_fma_f16 v129, v47, s1, -v128
	v_add_f16_e32 v29, v30, v29
	v_fma_f16 v30, v2, s7, v103
	v_add_f16_e32 v122, v129, v122
	v_mul_f16_e32 v129, 0xba62, v74
	v_add_f16_sdwa v30, v30, v6 dst_sel:DWORD dst_unused:UNUSED_PAD src0_sel:DWORD src1_sel:WORD_1
	v_fma_f16 v31, v4, s6, v105
	v_fma_f16 v130, v49, s7, -v129
	v_add_f16_e32 v30, v31, v30
	v_fma_f16 v31, v39, s1, v106
	v_add_f16_e32 v122, v130, v122
	v_mul_f16_e32 v130, 0xbbb2, v76
	v_add_f16_e32 v30, v31, v30
	v_fma_f16 v31, v41, s8, v107
	v_fma_f16 v131, v51, s6, v130
	v_mul_f16_e32 v132, 0x3836, v77
	v_add_f16_e32 v30, v31, v30
	v_fma_f16 v31, v43, s5, v108
	v_add_f16_e32 v131, v131, v6
	v_fma_f16 v133, v53, s8, v132
	;; [unrolled: 2-line block ×3, first 2 shown]
	v_add_f16_e32 v131, v133, v131
	v_mul_f16_e32 v133, 0x3964, v78
	v_add_f16_e32 v30, v31, v30
	v_fma_f16 v31, v47, s9, v110
	v_fma_f16 v134, v55, s0, v133
	v_add_f16_e32 v30, v31, v30
	v_fma_f16 v31, v49, s4, v111
	v_add_f16_e32 v131, v134, v131
	v_mul_f16_e32 v134, 0xbb29, v79
	v_add_f16_e32 v30, v31, v30
	v_fma_f16 v31, v51, s7, -v112
	v_fma_f16 v135, v57, s4, v134
	v_add_f16_e32 v31, v31, v6
	v_fma_f16 v32, v53, s6, -v114
	v_add_f16_e32 v131, v135, v131
	v_mul_f16_e32 v135, 0xb1e1, v80
	v_add_f16_e32 v31, v32, v31
	v_fma_f16 v32, v55, s1, -v115
	v_fma_f16 v136, v59, s9, v135
	v_add_f16_e32 v31, v32, v31
	v_fma_f16 v32, v57, s8, -v116
	;; [unrolled: 7-line block ×4, first 2 shown]
	v_add_f16_e32 v131, v138, v131
	v_mul_f16_e32 v138, 0xba62, v84
	v_add_f16_e32 v31, v32, v31
	v_fma_f16 v32, v2, s6, v121
	v_fma_f16 v139, v64, s7, v138
	v_add_f16_sdwa v32, v32, v6 dst_sel:DWORD dst_unused:UNUSED_PAD src0_sel:DWORD src1_sel:WORD_1
	v_fma_f16 v33, v4, s8, v123
	v_add_f16_e32 v131, v139, v131
	v_mul_f16_e32 v139, 0xbbf7, v67
	v_add_f16_e32 v32, v33, v32
	v_fma_f16 v33, v39, s0, v124
	v_fma_f16 v140, v2, s5, -v139
	v_mul_f16_e32 v141, 0xb1e1, v68
	v_add_f16_e32 v32, v33, v32
	v_fma_f16 v33, v41, s4, v125
	v_add_f16_sdwa v140, v140, v6 dst_sel:DWORD dst_unused:UNUSED_PAD src0_sel:DWORD src1_sel:WORD_1
	v_fma_f16 v142, v4, s9, -v141
	v_add_f16_e32 v32, v33, v32
	v_fma_f16 v33, v43, s9, v126
	v_add_f16_e32 v140, v142, v140
	v_mul_f16_e32 v142, 0x3bb2, v69
	v_add_f16_e32 v32, v33, v32
	v_fma_f16 v33, v45, s5, v127
	v_fma_f16 v143, v39, s6, -v142
	v_add_f16_e32 v32, v33, v32
	v_fma_f16 v33, v47, s1, v128
	v_add_f16_e32 v140, v143, v140
	v_mul_f16_e32 v143, 0x35c8, v70
	v_add_f16_e32 v32, v33, v32
	v_fma_f16 v33, v49, s7, v129
	v_fma_f16 v144, v41, s1, -v143
	v_add_f16_e32 v32, v33, v32
	v_fma_f16 v33, v51, s6, -v130
	v_add_f16_e32 v140, v144, v140
	v_mul_f16_e32 v144, 0xbb29, v71
	v_add_f16_e32 v33, v33, v6
	v_fma_f16 v34, v53, s8, -v132
	v_fma_f16 v145, v43, s4, -v144
	v_add_f16_e32 v33, v34, v33
	v_fma_f16 v34, v55, s0, -v133
	v_add_f16_e32 v140, v145, v140
	v_mul_f16_e32 v145, 0xb836, v72
	v_add_f16_e32 v33, v34, v33
	v_fma_f16 v34, v57, s4, -v134
	;; [unrolled: 7-line block ×4, first 2 shown]
	v_fma_f16 v148, v49, s0, -v147
	v_add_f16_e32 v33, v34, v33
	v_fma_f16 v34, v2, s5, v139
	v_add_f16_e32 v140, v148, v140
	v_mul_f16_e32 v148, 0xbbf7, v76
	v_add_f16_sdwa v34, v34, v6 dst_sel:DWORD dst_unused:UNUSED_PAD src0_sel:DWORD src1_sel:WORD_1
	v_fma_f16 v35, v4, s9, v141
	v_fma_f16 v149, v51, s5, v148
	v_mul_f16_e32 v150, 0xb1e1, v77
	v_add_f16_e32 v34, v35, v34
	v_fma_f16 v35, v39, s6, v142
	v_add_f16_e32 v149, v149, v6
	v_fma_f16 v151, v53, s9, v150
	;; [unrolled: 2-line block ×3, first 2 shown]
	v_add_f16_e32 v149, v151, v149
	v_mul_f16_e32 v151, 0x3bb2, v78
	v_add_f16_e32 v34, v35, v34
	v_fma_f16 v35, v43, s4, v144
	v_fma_f16 v152, v55, s6, v151
	v_add_f16_e32 v34, v35, v34
	v_fma_f16 v35, v45, s8, v145
	v_add_f16_e32 v149, v152, v149
	v_mul_f16_e32 v152, 0x35c8, v79
	v_add_f16_e32 v34, v35, v34
	v_fma_f16 v35, v47, s7, v146
	v_fma_f16 v153, v57, s1, v152
	v_add_f16_e32 v34, v35, v34
	v_fma_f16 v35, v49, s0, v147
	v_add_f16_e32 v149, v153, v149
	v_mul_f16_e32 v153, 0xbb29, v80
	v_add_f16_e32 v34, v35, v34
	v_fma_f16 v35, v51, s5, -v148
	v_fma_f16 v154, v59, s4, v153
	v_add_f16_e32 v35, v35, v6
	v_fma_f16 v36, v53, s9, -v150
	v_add_f16_e32 v149, v154, v149
	v_mul_f16_e32 v154, 0xb836, v81
	v_add_f16_e32 v35, v36, v35
	v_fma_f16 v36, v55, s6, -v151
	v_fma_f16 v155, v60, s8, v154
	v_add_f16_e32 v35, v36, v35
	v_fma_f16 v36, v57, s1, -v152
	;; [unrolled: 7-line block ×3, first 2 shown]
	v_add_f16_e32 v149, v156, v149
	v_mul_f16_e32 v156, 0x3964, v84
	v_add_f16_e32 v35, v36, v35
	v_fma_f16 v36, v63, s7, -v155
	v_fma_f16 v9, v2, s0, v9
	v_fma_f16 v157, v64, s0, v156
	v_mul_f16_e32 v67, 0xbb29, v67
	v_add_f16_e32 v35, v36, v35
	v_fma_f16 v36, v64, s0, -v156
	v_add_f16_sdwa v9, v9, v6 dst_sel:DWORD dst_unused:UNUSED_PAD src0_sel:DWORD src1_sel:WORD_1
	v_fma_f16 v10, v4, s5, v10
	v_add_f16_e32 v149, v157, v149
	v_fma_f16 v157, v2, s4, -v67
	v_mul_f16_e32 v68, 0xba62, v68
	v_add_f16_e32 v35, v36, v35
	v_fma_f16 v36, v2, s4, v67
	v_add_f16_e32 v9, v10, v9
	v_fma_f16 v10, v39, s7, v11
	v_fma_f16 v2, v2, s1, v3
	v_add_f16_sdwa v157, v157, v6 dst_sel:DWORD dst_unused:UNUSED_PAD src0_sel:DWORD src1_sel:WORD_1
	v_fma_f16 v158, v4, s7, -v68
	v_mul_f16_e32 v69, 0x31e1, v69
	v_add_f16_sdwa v36, v36, v6 dst_sel:DWORD dst_unused:UNUSED_PAD src0_sel:DWORD src1_sel:WORD_1
	v_fma_f16 v37, v4, s7, v68
	v_add_f16_e32 v9, v10, v9
	v_fma_f16 v10, v41, s9, v12
	v_fma_f16 v3, v4, s0, v5
	v_add_f16_sdwa v2, v2, v6 dst_sel:DWORD dst_unused:UNUSED_PAD src0_sel:DWORD src1_sel:WORD_1
	v_add_f16_e32 v157, v158, v157
	v_fma_f16 v158, v39, s9, -v69
	v_mul_f16_e32 v70, 0x3bb2, v70
	v_add_f16_e32 v36, v37, v36
	v_fma_f16 v37, v39, s9, v69
	v_add_f16_e32 v9, v10, v9
	v_fma_f16 v10, v43, s8, v13
	v_add_f16_e32 v2, v3, v2
	v_fma_f16 v3, v39, s4, v40
	v_add_f16_e32 v157, v158, v157
	v_fma_f16 v158, v41, s6, -v70
	v_mul_f16_e32 v71, 0x3964, v71
	v_add_f16_e32 v36, v37, v36
	v_fma_f16 v37, v41, s6, v70
	v_add_f16_e32 v9, v10, v9
	v_fma_f16 v10, v45, s6, v14
	v_add_f16_e32 v2, v3, v2
	v_fma_f16 v3, v41, s5, v42
	;; [unrolled: 9-line block ×4, first 2 shown]
	v_add_f16_e32 v157, v158, v157
	v_fma_f16 v158, v47, s5, -v73
	v_mul_f16_e32 v74, 0xb836, v74
	v_add_f16_e32 v36, v37, v36
	v_fma_f16 v37, v47, s5, v73
	v_add_f16_e32 v11, v10, v9
	v_fma_f16 v9, v51, s0, -v17
	v_add_f16_e32 v2, v3, v2
	v_fma_f16 v3, v47, s8, v48
	v_add_f16_e32 v157, v158, v157
	v_fma_f16 v158, v49, s8, -v74
	v_mul_f16_e32 v76, 0xbb29, v76
	v_add_f16_e32 v36, v37, v36
	v_fma_f16 v37, v49, s8, v74
	v_add_f16_e32 v9, v9, v6
	v_fma_f16 v10, v53, s5, -v18
	v_add_f16_e32 v2, v3, v2
	v_fma_f16 v3, v49, s9, v50
	v_add_f16_e32 v157, v158, v157
	v_fma_f16 v158, v51, s4, v76
	v_mul_f16_e32 v77, 0xba62, v77
	v_add_f16_e32 v36, v37, v36
	v_fma_f16 v37, v51, s4, -v76
	v_add_f16_e32 v9, v10, v9
	v_fma_f16 v10, v55, s7, -v19
	v_add_f16_e32 v13, v3, v2
	v_fma_f16 v2, v51, s1, -v52
	v_add_f16_e32 v158, v158, v6
	v_fma_f16 v159, v53, s7, v77
	v_mul_f16_e32 v78, 0x31e1, v78
	v_add_f16_e32 v37, v37, v6
	v_fma_f16 v38, v53, s7, -v77
	v_add_f16_e32 v9, v10, v9
	v_fma_f16 v10, v57, s9, -v20
	v_add_f16_e32 v2, v2, v6
	v_fma_f16 v3, v53, s0, -v54
	;; [unrolled: 9-line block ×5, first 2 shown]
	v_add_f16_e32 v158, v159, v158
	v_fma_f16 v159, v60, s1, v81
	v_add_f16_e32 v37, v38, v37
	v_fma_f16 v38, v60, s1, -v81
	v_add_f16_e32 v9, v10, v9
	v_fma_f16 v10, v64, s1, -v25
	v_add_f16_e32 v4, v3, v2
	v_mad_u64_u32 v[2:3], s[0:1], s2, 12, v[0:1]
	v_fma_f16 v5, v60, s7, -v62
	v_add_f16_e32 v5, v5, v4
	v_fma_f16 v6, v63, s8, -v65
	v_mad_u64_u32 v[3:4], s[0:1], s3, 12, v[3:4]
	v_mul_f16_e32 v82, 0xbbf7, v82
	v_add_f16_e32 v4, v6, v5
	v_fma_f16 v5, v64, s9, -v66
	v_add_f16_e32 v158, v159, v158
	v_fma_f16 v159, v63, s5, v82
	v_mul_f16_e32 v84, 0xb836, v84
	v_add_f16_e32 v14, v5, v4
	v_mad_u64_u32 v[4:5], s[0:1], s2, 20, v[0:1]
	v_add_f16_e32 v158, v159, v158
	v_fma_f16 v159, v64, s8, v84
	v_add_f16_e32 v158, v159, v158
	v_pack_b32_f16 v6, v158, v157
	global_store_dword v[2:3], v6, off
	v_mov_b32_e32 v2, v5
	v_add_f16_e32 v37, v38, v37
	v_fma_f16 v38, v63, s5, -v82
	v_mad_u64_u32 v[2:3], s[4:5], s3, 20, v[2:3]
	s_lshl_b64 s[0:1], s[2:3], 4
	v_mov_b32_e32 v6, s1
	v_add_co_u32_e32 v5, vcc, s0, v0
	v_addc_co_u32_e32 v6, vcc, v1, v6, vcc
	v_pack_b32_f16 v3, v149, v140
	global_store_dword v[5:6], v3, off
	v_mov_b32_e32 v5, v2
	v_pack_b32_f16 v6, v131, v122
	v_mad_u64_u32 v[2:3], s[0:1], s2, 24, v[0:1]
	global_store_dword v[4:5], v6, off
	v_mad_u64_u32 v[4:5], s[0:1], s2, 28, v[0:1]
	v_add_f16_e32 v12, v10, v9
	v_add_f16_e32 v37, v38, v37
	v_mad_u64_u32 v[9:10], s[0:1], s3, 24, v[3:4]
	v_mov_b32_e32 v3, v5
	v_mad_u64_u32 v[5:6], s[0:1], s3, 28, v[3:4]
	v_mov_b32_e32 v3, v9
	v_pack_b32_f16 v6, v113, v104
	global_store_dword v[2:3], v6, off
	v_mad_u64_u32 v[2:3], s[0:1], s2, 36, v[0:1]
	v_pack_b32_f16 v6, v95, v23
	global_store_dword v[4:5], v6, off
	s_lshl_b64 s[0:1], s[2:3], 5
	v_mad_u64_u32 v[3:4], s[4:5], s3, 36, v[3:4]
	v_mov_b32_e32 v5, s1
	v_add_co_u32_e32 v4, vcc, s0, v0
	v_addc_co_u32_e32 v5, vcc, v1, v5, vcc
	v_pack_b32_f16 v6, v8, v7
	global_store_dword v[4:5], v6, off
	v_pack_b32_f16 v6, v27, v26
	v_mad_u64_u32 v[4:5], s[0:1], s2, 40, v[0:1]
	global_store_dword v[2:3], v6, off
	v_mad_u64_u32 v[2:3], s[0:1], s2, 44, v[0:1]
	v_mad_u64_u32 v[5:6], s[0:1], s3, 40, v[5:6]
	;; [unrolled: 1-line block ×3, first 2 shown]
	v_pack_b32_f16 v3, v29, v28
	global_store_dword v[4:5], v3, off
	v_mov_b32_e32 v3, v6
	v_pack_b32_f16 v6, v31, v30
	v_mad_u64_u32 v[4:5], s[0:1], s2, 48, v[0:1]
	global_store_dword v[2:3], v6, off
	v_mad_u64_u32 v[2:3], s[0:1], s2, 52, v[0:1]
	v_mad_u64_u32 v[5:6], s[0:1], s3, 48, v[5:6]
	;; [unrolled: 1-line block ×3, first 2 shown]
	v_pack_b32_f16 v3, v33, v32
	global_store_dword v[4:5], v3, off
	v_mov_b32_e32 v3, v6
	v_pack_b32_f16 v6, v35, v34
	v_mad_u64_u32 v[4:5], s[0:1], s2, 56, v[0:1]
	global_store_dword v[2:3], v6, off
	v_mad_u64_u32 v[2:3], s[0:1], s2, 60, v[0:1]
	v_mad_u64_u32 v[5:6], s[0:1], s3, 56, v[5:6]
	;; [unrolled: 1-line block ×3, first 2 shown]
	v_fma_f16 v38, v64, s8, -v84
	v_add_f16_e32 v37, v38, v37
	v_pack_b32_f16 v3, v37, v36
	global_store_dword v[4:5], v3, off
	v_mov_b32_e32 v3, v6
	v_pack_b32_f16 v4, v12, v11
	s_lshl_b64 s[0:1], s[2:3], 6
	global_store_dword v[2:3], v4, off
	v_mov_b32_e32 v2, s1
	v_add_co_u32_e32 v0, vcc, s0, v0
	v_addc_co_u32_e32 v1, vcc, v1, v2, vcc
	v_pack_b32_f16 v2, v14, v13
	global_store_dword v[0:1], v2, off
	s_endpgm
	.section	.rodata,"a",@progbits
	.p2align	6, 0x0
	.amdhsa_kernel fft_rtc_back_len17_factors_17_wgs_120_tpt_1_half_op_CI_CI_sbrr_dirReg
		.amdhsa_group_segment_fixed_size 0
		.amdhsa_private_segment_fixed_size 0
		.amdhsa_kernarg_size 104
		.amdhsa_user_sgpr_count 6
		.amdhsa_user_sgpr_private_segment_buffer 1
		.amdhsa_user_sgpr_dispatch_ptr 0
		.amdhsa_user_sgpr_queue_ptr 0
		.amdhsa_user_sgpr_kernarg_segment_ptr 1
		.amdhsa_user_sgpr_dispatch_id 0
		.amdhsa_user_sgpr_flat_scratch_init 0
		.amdhsa_user_sgpr_private_segment_size 0
		.amdhsa_uses_dynamic_stack 0
		.amdhsa_system_sgpr_private_segment_wavefront_offset 0
		.amdhsa_system_sgpr_workgroup_id_x 1
		.amdhsa_system_sgpr_workgroup_id_y 0
		.amdhsa_system_sgpr_workgroup_id_z 0
		.amdhsa_system_sgpr_workgroup_info 0
		.amdhsa_system_vgpr_workitem_id 0
		.amdhsa_next_free_vgpr 160
		.amdhsa_next_free_sgpr 30
		.amdhsa_reserve_vcc 1
		.amdhsa_reserve_flat_scratch 0
		.amdhsa_float_round_mode_32 0
		.amdhsa_float_round_mode_16_64 0
		.amdhsa_float_denorm_mode_32 3
		.amdhsa_float_denorm_mode_16_64 3
		.amdhsa_dx10_clamp 1
		.amdhsa_ieee_mode 1
		.amdhsa_fp16_overflow 0
		.amdhsa_exception_fp_ieee_invalid_op 0
		.amdhsa_exception_fp_denorm_src 0
		.amdhsa_exception_fp_ieee_div_zero 0
		.amdhsa_exception_fp_ieee_overflow 0
		.amdhsa_exception_fp_ieee_underflow 0
		.amdhsa_exception_fp_ieee_inexact 0
		.amdhsa_exception_int_div_zero 0
	.end_amdhsa_kernel
	.text
.Lfunc_end0:
	.size	fft_rtc_back_len17_factors_17_wgs_120_tpt_1_half_op_CI_CI_sbrr_dirReg, .Lfunc_end0-fft_rtc_back_len17_factors_17_wgs_120_tpt_1_half_op_CI_CI_sbrr_dirReg
                                        ; -- End function
	.section	.AMDGPU.csdata,"",@progbits
; Kernel info:
; codeLenInByte = 7008
; NumSgprs: 34
; NumVgprs: 160
; ScratchSize: 0
; MemoryBound: 0
; FloatMode: 240
; IeeeMode: 1
; LDSByteSize: 0 bytes/workgroup (compile time only)
; SGPRBlocks: 4
; VGPRBlocks: 39
; NumSGPRsForWavesPerEU: 34
; NumVGPRsForWavesPerEU: 160
; Occupancy: 1
; WaveLimiterHint : 1
; COMPUTE_PGM_RSRC2:SCRATCH_EN: 0
; COMPUTE_PGM_RSRC2:USER_SGPR: 6
; COMPUTE_PGM_RSRC2:TRAP_HANDLER: 0
; COMPUTE_PGM_RSRC2:TGID_X_EN: 1
; COMPUTE_PGM_RSRC2:TGID_Y_EN: 0
; COMPUTE_PGM_RSRC2:TGID_Z_EN: 0
; COMPUTE_PGM_RSRC2:TIDIG_COMP_CNT: 0
	.type	__hip_cuid_ecf1c73cba6ae0a4,@object ; @__hip_cuid_ecf1c73cba6ae0a4
	.section	.bss,"aw",@nobits
	.globl	__hip_cuid_ecf1c73cba6ae0a4
__hip_cuid_ecf1c73cba6ae0a4:
	.byte	0                               ; 0x0
	.size	__hip_cuid_ecf1c73cba6ae0a4, 1

	.ident	"AMD clang version 19.0.0git (https://github.com/RadeonOpenCompute/llvm-project roc-6.4.0 25133 c7fe45cf4b819c5991fe208aaa96edf142730f1d)"
	.section	".note.GNU-stack","",@progbits
	.addrsig
	.addrsig_sym __hip_cuid_ecf1c73cba6ae0a4
	.amdgpu_metadata
---
amdhsa.kernels:
  - .args:
      - .actual_access:  read_only
        .address_space:  global
        .offset:         0
        .size:           8
        .value_kind:     global_buffer
      - .offset:         8
        .size:           8
        .value_kind:     by_value
      - .actual_access:  read_only
        .address_space:  global
        .offset:         16
        .size:           8
        .value_kind:     global_buffer
      - .actual_access:  read_only
        .address_space:  global
        .offset:         24
        .size:           8
        .value_kind:     global_buffer
      - .actual_access:  read_only
        .address_space:  global
        .offset:         32
        .size:           8
        .value_kind:     global_buffer
      - .offset:         40
        .size:           8
        .value_kind:     by_value
      - .actual_access:  read_only
        .address_space:  global
        .offset:         48
        .size:           8
        .value_kind:     global_buffer
      - .actual_access:  read_only
        .address_space:  global
        .offset:         56
        .size:           8
        .value_kind:     global_buffer
      - .offset:         64
        .size:           4
        .value_kind:     by_value
      - .actual_access:  read_only
        .address_space:  global
        .offset:         72
        .size:           8
        .value_kind:     global_buffer
      - .actual_access:  read_only
        .address_space:  global
        .offset:         80
        .size:           8
        .value_kind:     global_buffer
      - .actual_access:  read_only
        .address_space:  global
        .offset:         88
        .size:           8
        .value_kind:     global_buffer
      - .actual_access:  write_only
        .address_space:  global
        .offset:         96
        .size:           8
        .value_kind:     global_buffer
    .group_segment_fixed_size: 0
    .kernarg_segment_align: 8
    .kernarg_segment_size: 104
    .language:       OpenCL C
    .language_version:
      - 2
      - 0
    .max_flat_workgroup_size: 120
    .name:           fft_rtc_back_len17_factors_17_wgs_120_tpt_1_half_op_CI_CI_sbrr_dirReg
    .private_segment_fixed_size: 0
    .sgpr_count:     34
    .sgpr_spill_count: 0
    .symbol:         fft_rtc_back_len17_factors_17_wgs_120_tpt_1_half_op_CI_CI_sbrr_dirReg.kd
    .uniform_work_group_size: 1
    .uses_dynamic_stack: false
    .vgpr_count:     160
    .vgpr_spill_count: 0
    .wavefront_size: 64
amdhsa.target:   amdgcn-amd-amdhsa--gfx906
amdhsa.version:
  - 1
  - 2
...

	.end_amdgpu_metadata
